;; amdgpu-corpus repo=ROCm/rocFFT kind=compiled arch=gfx906 opt=O3
	.text
	.amdgcn_target "amdgcn-amd-amdhsa--gfx906"
	.amdhsa_code_object_version 6
	.protected	fft_rtc_fwd_len10_factors_10_wgs_64_tpt_1_sp_ip_CI_unitstride_sbrr_R2C_dirReg ; -- Begin function fft_rtc_fwd_len10_factors_10_wgs_64_tpt_1_sp_ip_CI_unitstride_sbrr_R2C_dirReg
	.globl	fft_rtc_fwd_len10_factors_10_wgs_64_tpt_1_sp_ip_CI_unitstride_sbrr_R2C_dirReg
	.p2align	8
	.type	fft_rtc_fwd_len10_factors_10_wgs_64_tpt_1_sp_ip_CI_unitstride_sbrr_R2C_dirReg,@function
fft_rtc_fwd_len10_factors_10_wgs_64_tpt_1_sp_ip_CI_unitstride_sbrr_R2C_dirReg: ; @fft_rtc_fwd_len10_factors_10_wgs_64_tpt_1_sp_ip_CI_unitstride_sbrr_R2C_dirReg
; %bb.0:
	s_load_dwordx4 s[8:11], s[4:5], 0x0
	s_load_dwordx2 s[12:13], s[4:5], 0x50
	s_load_dwordx2 s[2:3], s[4:5], 0x18
	v_mov_b32_e32 v3, 0
	v_mov_b32_e32 v1, 0
	s_waitcnt lgkmcnt(0)
	v_cmp_lt_u64_e64 s[0:1], s[10:11], 2
	v_lshl_or_b32 v5, s6, 6, v0
	v_mov_b32_e32 v6, v3
	s_and_b64 vcc, exec, s[0:1]
	v_mov_b32_e32 v2, 0
	s_cbranch_vccnz .LBB0_8
; %bb.1:
	s_load_dwordx2 s[0:1], s[4:5], 0x10
	s_add_u32 s6, s2, 8
	s_addc_u32 s7, s3, 0
	v_mov_b32_e32 v1, 0
	v_mov_b32_e32 v2, 0
	s_waitcnt lgkmcnt(0)
	s_add_u32 s14, s0, 8
	s_addc_u32 s15, s1, 0
	s_mov_b64 s[16:17], 1
.LBB0_2:                                ; =>This Inner Loop Header: Depth=1
	s_load_dwordx2 s[18:19], s[14:15], 0x0
                                        ; implicit-def: $vgpr7_vgpr8
	s_waitcnt lgkmcnt(0)
	v_or_b32_e32 v4, s19, v6
	v_cmp_ne_u64_e32 vcc, 0, v[3:4]
	s_and_saveexec_b64 s[0:1], vcc
	s_xor_b64 s[20:21], exec, s[0:1]
	s_cbranch_execz .LBB0_4
; %bb.3:                                ;   in Loop: Header=BB0_2 Depth=1
	v_cvt_f32_u32_e32 v4, s18
	v_cvt_f32_u32_e32 v7, s19
	s_sub_u32 s0, 0, s18
	s_subb_u32 s1, 0, s19
	v_mac_f32_e32 v4, 0x4f800000, v7
	v_rcp_f32_e32 v4, v4
	v_mul_f32_e32 v4, 0x5f7ffffc, v4
	v_mul_f32_e32 v7, 0x2f800000, v4
	v_trunc_f32_e32 v7, v7
	v_mac_f32_e32 v4, 0xcf800000, v7
	v_cvt_u32_f32_e32 v7, v7
	v_cvt_u32_f32_e32 v4, v4
	v_mul_lo_u32 v8, s0, v7
	v_mul_hi_u32 v9, s0, v4
	v_mul_lo_u32 v11, s1, v4
	v_mul_lo_u32 v10, s0, v4
	v_add_u32_e32 v8, v9, v8
	v_add_u32_e32 v8, v8, v11
	v_mul_hi_u32 v9, v4, v10
	v_mul_lo_u32 v11, v4, v8
	v_mul_hi_u32 v13, v4, v8
	v_mul_hi_u32 v12, v7, v10
	v_mul_lo_u32 v10, v7, v10
	v_mul_hi_u32 v14, v7, v8
	v_add_co_u32_e32 v9, vcc, v9, v11
	v_addc_co_u32_e32 v11, vcc, 0, v13, vcc
	v_mul_lo_u32 v8, v7, v8
	v_add_co_u32_e32 v9, vcc, v9, v10
	v_addc_co_u32_e32 v9, vcc, v11, v12, vcc
	v_addc_co_u32_e32 v10, vcc, 0, v14, vcc
	v_add_co_u32_e32 v8, vcc, v9, v8
	v_addc_co_u32_e32 v9, vcc, 0, v10, vcc
	v_add_co_u32_e32 v4, vcc, v4, v8
	v_addc_co_u32_e32 v7, vcc, v7, v9, vcc
	v_mul_lo_u32 v8, s0, v7
	v_mul_hi_u32 v9, s0, v4
	v_mul_lo_u32 v10, s1, v4
	v_mul_lo_u32 v11, s0, v4
	v_add_u32_e32 v8, v9, v8
	v_add_u32_e32 v8, v8, v10
	v_mul_lo_u32 v12, v4, v8
	v_mul_hi_u32 v13, v4, v11
	v_mul_hi_u32 v14, v4, v8
	;; [unrolled: 1-line block ×3, first 2 shown]
	v_mul_lo_u32 v11, v7, v11
	v_mul_hi_u32 v9, v7, v8
	v_add_co_u32_e32 v12, vcc, v13, v12
	v_addc_co_u32_e32 v13, vcc, 0, v14, vcc
	v_mul_lo_u32 v8, v7, v8
	v_add_co_u32_e32 v11, vcc, v12, v11
	v_addc_co_u32_e32 v10, vcc, v13, v10, vcc
	v_addc_co_u32_e32 v9, vcc, 0, v9, vcc
	v_add_co_u32_e32 v8, vcc, v10, v8
	v_addc_co_u32_e32 v9, vcc, 0, v9, vcc
	v_add_co_u32_e32 v4, vcc, v4, v8
	v_addc_co_u32_e32 v9, vcc, v7, v9, vcc
	v_mad_u64_u32 v[7:8], s[0:1], v5, v9, 0
	v_mul_hi_u32 v10, v5, v4
	v_add_co_u32_e32 v11, vcc, v10, v7
	v_addc_co_u32_e32 v12, vcc, 0, v8, vcc
	v_mad_u64_u32 v[7:8], s[0:1], v6, v4, 0
	v_mad_u64_u32 v[9:10], s[0:1], v6, v9, 0
	v_add_co_u32_e32 v4, vcc, v11, v7
	v_addc_co_u32_e32 v4, vcc, v12, v8, vcc
	v_addc_co_u32_e32 v7, vcc, 0, v10, vcc
	v_add_co_u32_e32 v4, vcc, v4, v9
	v_addc_co_u32_e32 v9, vcc, 0, v7, vcc
	v_mul_lo_u32 v10, s19, v4
	v_mul_lo_u32 v11, s18, v9
	v_mad_u64_u32 v[7:8], s[0:1], s18, v4, 0
	v_add3_u32 v8, v8, v11, v10
	v_sub_u32_e32 v10, v6, v8
	v_mov_b32_e32 v11, s19
	v_sub_co_u32_e32 v7, vcc, v5, v7
	v_subb_co_u32_e64 v10, s[0:1], v10, v11, vcc
	v_subrev_co_u32_e64 v11, s[0:1], s18, v7
	v_subbrev_co_u32_e64 v10, s[0:1], 0, v10, s[0:1]
	v_cmp_le_u32_e64 s[0:1], s19, v10
	v_cndmask_b32_e64 v12, 0, -1, s[0:1]
	v_cmp_le_u32_e64 s[0:1], s18, v11
	v_cndmask_b32_e64 v11, 0, -1, s[0:1]
	v_cmp_eq_u32_e64 s[0:1], s19, v10
	v_cndmask_b32_e64 v10, v12, v11, s[0:1]
	v_add_co_u32_e64 v11, s[0:1], 2, v4
	v_addc_co_u32_e64 v12, s[0:1], 0, v9, s[0:1]
	v_add_co_u32_e64 v13, s[0:1], 1, v4
	v_addc_co_u32_e64 v14, s[0:1], 0, v9, s[0:1]
	v_subb_co_u32_e32 v8, vcc, v6, v8, vcc
	v_cmp_ne_u32_e64 s[0:1], 0, v10
	v_cmp_le_u32_e32 vcc, s19, v8
	v_cndmask_b32_e64 v10, v14, v12, s[0:1]
	v_cndmask_b32_e64 v12, 0, -1, vcc
	v_cmp_le_u32_e32 vcc, s18, v7
	v_cndmask_b32_e64 v7, 0, -1, vcc
	v_cmp_eq_u32_e32 vcc, s19, v8
	v_cndmask_b32_e32 v7, v12, v7, vcc
	v_cmp_ne_u32_e32 vcc, 0, v7
	v_cndmask_b32_e64 v7, v13, v11, s[0:1]
	v_cndmask_b32_e32 v8, v9, v10, vcc
	v_cndmask_b32_e32 v7, v4, v7, vcc
.LBB0_4:                                ;   in Loop: Header=BB0_2 Depth=1
	s_andn2_saveexec_b64 s[0:1], s[20:21]
	s_cbranch_execz .LBB0_6
; %bb.5:                                ;   in Loop: Header=BB0_2 Depth=1
	v_cvt_f32_u32_e32 v4, s18
	s_sub_i32 s20, 0, s18
	v_rcp_iflag_f32_e32 v4, v4
	v_mul_f32_e32 v4, 0x4f7ffffe, v4
	v_cvt_u32_f32_e32 v4, v4
	v_mul_lo_u32 v7, s20, v4
	v_mul_hi_u32 v7, v4, v7
	v_add_u32_e32 v4, v4, v7
	v_mul_hi_u32 v4, v5, v4
	v_mul_lo_u32 v7, v4, s18
	v_add_u32_e32 v8, 1, v4
	v_sub_u32_e32 v7, v5, v7
	v_subrev_u32_e32 v9, s18, v7
	v_cmp_le_u32_e32 vcc, s18, v7
	v_cndmask_b32_e32 v7, v7, v9, vcc
	v_cndmask_b32_e32 v4, v4, v8, vcc
	v_add_u32_e32 v8, 1, v4
	v_cmp_le_u32_e32 vcc, s18, v7
	v_cndmask_b32_e32 v7, v4, v8, vcc
	v_mov_b32_e32 v8, v3
.LBB0_6:                                ;   in Loop: Header=BB0_2 Depth=1
	s_or_b64 exec, exec, s[0:1]
	v_mul_lo_u32 v4, v8, s18
	v_mul_lo_u32 v11, v7, s19
	v_mad_u64_u32 v[9:10], s[0:1], v7, s18, 0
	s_load_dwordx2 s[0:1], s[6:7], 0x0
	s_add_u32 s16, s16, 1
	v_add3_u32 v4, v10, v11, v4
	v_sub_co_u32_e32 v5, vcc, v5, v9
	v_subb_co_u32_e32 v4, vcc, v6, v4, vcc
	s_waitcnt lgkmcnt(0)
	v_mul_lo_u32 v4, s0, v4
	v_mul_lo_u32 v6, s1, v5
	v_mad_u64_u32 v[1:2], s[0:1], s0, v5, v[1:2]
	s_addc_u32 s17, s17, 0
	s_add_u32 s6, s6, 8
	v_add3_u32 v2, v6, v2, v4
	v_mov_b32_e32 v4, s10
	v_mov_b32_e32 v5, s11
	s_addc_u32 s7, s7, 0
	v_cmp_ge_u64_e32 vcc, s[16:17], v[4:5]
	s_add_u32 s14, s14, 8
	s_addc_u32 s15, s15, 0
	s_cbranch_vccnz .LBB0_9
; %bb.7:                                ;   in Loop: Header=BB0_2 Depth=1
	v_mov_b32_e32 v5, v7
	v_mov_b32_e32 v6, v8
	s_branch .LBB0_2
.LBB0_8:
	v_mov_b32_e32 v8, v6
	v_mov_b32_e32 v7, v5
.LBB0_9:
	s_lshl_b64 s[0:1], s[10:11], 3
	s_add_u32 s0, s2, s0
	s_addc_u32 s1, s3, s1
	s_load_dwordx2 s[2:3], s[0:1], 0x0
	s_load_dwordx2 s[6:7], s[4:5], 0x20
	v_mul_u32_u24_e32 v5, 11, v0
	s_waitcnt lgkmcnt(0)
	v_mul_lo_u32 v3, s2, v8
	v_mul_lo_u32 v4, s3, v7
	v_mad_u64_u32 v[1:2], s[0:1], s2, v7, v[1:2]
	v_cmp_gt_u64_e32 vcc, s[6:7], v[7:8]
	v_add3_u32 v2, v4, v2, v3
	v_lshlrev_b64 v[0:1], 3, v[1:2]
	v_lshl_add_u32 v2, v5, 3, 0
	s_and_saveexec_b64 s[2:3], vcc
	s_cbranch_execz .LBB0_11
; %bb.10:
	v_mov_b32_e32 v3, s13
	v_add_co_u32_e64 v23, s[0:1], s12, v0
	v_addc_co_u32_e64 v24, s[0:1], v3, v1, s[0:1]
	global_load_dwordx4 v[3:6], v[23:24], off
	global_load_dwordx4 v[7:10], v[23:24], off offset:16
	global_load_dwordx4 v[11:14], v[23:24], off offset:32
	;; [unrolled: 1-line block ×4, first 2 shown]
	s_waitcnt vmcnt(4)
	ds_write2_b64 v2, v[3:4], v[5:6] offset1:1
	s_waitcnt vmcnt(3)
	ds_write2_b64 v2, v[7:8], v[9:10] offset0:2 offset1:3
	s_waitcnt vmcnt(2)
	ds_write2_b64 v2, v[11:12], v[13:14] offset0:4 offset1:5
	;; [unrolled: 2-line block ×4, first 2 shown]
.LBB0_11:
	s_or_b64 exec, exec, s[2:3]
	s_waitcnt lgkmcnt(0)
	; wave barrier
	s_waitcnt lgkmcnt(0)
	ds_read2_b64 v[3:6], v2 offset1:1
	ds_read2_b64 v[7:10], v2 offset0:2 offset1:3
	ds_read2_b64 v[11:14], v2 offset0:4 offset1:5
	;; [unrolled: 1-line block ×3, first 2 shown]
	s_mov_b32 s0, 0x3f737871
	s_mov_b32 s1, 0xbf737871
	s_waitcnt lgkmcnt(2)
	v_add_f32_e32 v19, v3, v7
	s_waitcnt lgkmcnt(1)
	v_add_f32_e32 v23, v19, v11
	v_add_f32_e32 v19, v4, v8
	;; [unrolled: 1-line block ×7, first 2 shown]
	ds_read2_b64 v[19:22], v2 offset0:8 offset1:9
	v_sub_f32_e32 v29, v7, v11
	v_sub_f32_e32 v30, v11, v7
	s_waitcnt lgkmcnt(1)
	v_add_f32_e32 v33, v13, v17
	v_sub_f32_e32 v28, v12, v16
	s_waitcnt lgkmcnt(0)
	v_add_f32_e32 v40, v7, v19
	v_sub_f32_e32 v41, v7, v19
	v_add_f32_e32 v7, v23, v15
	v_sub_f32_e32 v23, v19, v15
	;; [unrolled: 2-line block ×3, first 2 shown]
	v_sub_f32_e32 v12, v12, v8
	v_add_f32_e32 v37, v14, v18
	v_sub_f32_e32 v39, v8, v20
	v_add_f32_e32 v42, v8, v20
	v_add_f32_e32 v8, v24, v16
	v_sub_f32_e32 v24, v20, v16
	v_add_f32_e32 v23, v29, v23
	v_fma_f32 v29, -0.5, v33, v5
	v_add_f32_e32 v27, v11, v15
	v_sub_f32_e32 v11, v11, v15
	v_sub_f32_e32 v43, v10, v22
	;; [unrolled: 1-line block ×3, first 2 shown]
	v_add_f32_e32 v19, v7, v19
	v_add_f32_e32 v24, v32, v24
	v_mov_b32_e32 v7, v29
	v_fma_f32 v32, -0.5, v37, v6
	v_sub_f32_e32 v34, v14, v18
	v_sub_f32_e32 v35, v9, v13
	;; [unrolled: 1-line block ×5, first 2 shown]
	v_add_f32_e32 v44, v9, v21
	v_sub_f32_e32 v45, v9, v21
	v_add_f32_e32 v46, v10, v22
	v_add_f32_e32 v9, v25, v17
	;; [unrolled: 1-line block ×3, first 2 shown]
	v_sub_f32_e32 v16, v16, v20
	v_sub_f32_e32 v25, v21, v17
	;; [unrolled: 1-line block ×3, first 2 shown]
	v_add_f32_e32 v20, v8, v20
	v_fmac_f32_e32 v7, 0x3f737871, v43
	v_mov_b32_e32 v8, v32
	v_fma_f32 v27, -0.5, v27, v3
	v_fma_f32 v31, -0.5, v31, v4
	v_sub_f32_e32 v13, v13, v17
	v_add_f32_e32 v25, v35, v25
	v_add_f32_e32 v26, v38, v26
	v_fmac_f32_e32 v7, 0x3f167918, v34
	v_fmac_f32_e32 v8, 0xbf737871, v45
	v_mov_b32_e32 v37, v27
	v_mov_b32_e32 v38, v31
	v_fmac_f32_e32 v7, 0x3e9e377a, v25
	v_fmac_f32_e32 v8, 0xbf167918, v13
	v_fmac_f32_e32 v37, 0x3f737871, v39
	v_fmac_f32_e32 v38, 0xbf737871, v41
	v_fmac_f32_e32 v8, 0x3e9e377a, v26
	v_mul_f32_e32 v33, 0x3f4f1bbd, v7
	v_mul_f32_e32 v35, 0xbf167918, v7
	v_fmac_f32_e32 v37, 0x3f167918, v28
	v_fmac_f32_e32 v38, 0xbf167918, v11
	v_sub_f32_e32 v17, v17, v21
	v_sub_f32_e32 v18, v18, v22
	v_add_f32_e32 v21, v9, v21
	v_add_f32_e32 v22, v10, v22
	v_fmac_f32_e32 v33, 0x3f167918, v8
	v_fmac_f32_e32 v35, 0x3f4f1bbd, v8
	;; [unrolled: 1-line block ×4, first 2 shown]
	v_add_f32_e32 v7, v19, v21
	v_add_f32_e32 v8, v20, v22
	;; [unrolled: 1-line block ×4, first 2 shown]
	s_waitcnt lgkmcnt(0)
	; wave barrier
	ds_write2_b64 v2, v[7:8], v[9:10] offset1:1
	v_add_f32_e32 v8, v14, v18
	v_fma_f32 v18, -0.5, v44, v5
	v_fmac_f32_e32 v6, -0.5, v46
	v_mov_b32_e32 v5, v18
	v_fmac_f32_e32 v18, 0x3f737871, v34
	v_add_f32_e32 v7, v36, v17
	v_fma_f32 v14, -0.5, v40, v3
	v_fmac_f32_e32 v18, 0xbf167918, v43
	v_mov_b32_e32 v9, v6
	v_fmac_f32_e32 v6, 0xbf737871, v13
	v_fmac_f32_e32 v18, 0x3e9e377a, v7
	;; [unrolled: 1-line block ×3, first 2 shown]
	v_mov_b32_e32 v10, v14
	v_fmac_f32_e32 v6, 0x3e9e377a, v8
	v_mul_f32_e32 v3, 0x3e9e377a, v18
	v_fmac_f32_e32 v10, 0xbf737871, v28
	v_fmac_f32_e32 v14, 0x3f737871, v28
	v_fma_f32 v17, -0.5, v42, v4
	v_fma_f32 v36, v6, s0, -v3
	v_mul_f32_e32 v40, 0x3e9e377a, v6
	v_add_f32_e32 v6, v30, v15
	v_fmac_f32_e32 v10, 0x3f167918, v39
	v_fmac_f32_e32 v14, 0xbf167918, v39
	;; [unrolled: 1-line block ×6, first 2 shown]
	v_add_f32_e32 v6, v12, v16
	v_mov_b32_e32 v12, v17
	v_fmac_f32_e32 v5, 0x3f167918, v43
	v_fmac_f32_e32 v9, 0xbf167918, v45
	;; [unrolled: 1-line block ×13, first 2 shown]
	v_mul_f32_e32 v11, 0x3f737871, v9
	v_mul_f32_e32 v13, 0xbf737871, v5
	v_fmac_f32_e32 v27, 0xbf737871, v39
	v_fmac_f32_e32 v12, 0x3e9e377a, v6
	;; [unrolled: 1-line block ×8, first 2 shown]
	s_mov_b32 s0, 0x3f167918
	v_add_f32_e32 v7, v10, v11
	v_add_f32_e32 v8, v12, v13
	v_sub_f32_e32 v9, v10, v11
	v_sub_f32_e32 v10, v12, v13
	v_mul_f32_e32 v12, 0x3f4f1bbd, v29
	v_fmac_f32_e32 v27, 0x3e9e377a, v23
	v_fmac_f32_e32 v17, 0x3e9e377a, v6
	s_mov_b32 s2, 0xbf167918
	v_fma_f32 v15, v18, s1, -v40
	v_fma_f32 v18, v32, s0, -v12
	v_mul_f32_e32 v16, 0x3f4f1bbd, v32
	v_sub_f32_e32 v3, v19, v21
	v_sub_f32_e32 v4, v20, v22
	v_fmac_f32_e32 v31, 0x3e9e377a, v24
	v_sub_f32_e32 v5, v37, v33
	v_sub_f32_e32 v6, v38, v35
	v_add_f32_e32 v11, v14, v36
	v_add_f32_e32 v12, v17, v15
	v_sub_f32_e32 v13, v14, v36
	v_sub_f32_e32 v14, v17, v15
	v_add_f32_e32 v15, v27, v18
	v_fma_f32 v19, v29, s2, -v16
	v_add_f32_e32 v16, v31, v19
	v_sub_f32_e32 v17, v27, v18
	v_sub_f32_e32 v18, v31, v19
	ds_write2_b64 v2, v[7:8], v[11:12] offset0:2 offset1:3
	ds_write2_b64 v2, v[15:16], v[3:4] offset0:4 offset1:5
	;; [unrolled: 1-line block ×4, first 2 shown]
	s_waitcnt lgkmcnt(0)
	; wave barrier
	s_waitcnt lgkmcnt(0)
	ds_read2_b64 v[3:6], v2 offset1:1
	ds_read_b32 v15, v2 offset:76
	ds_read2_b32 v[11:12], v2 offset0:17 offset1:18
	ds_read2_b64 v[7:10], v2 offset0:2 offset1:3
	s_load_dwordx8 s[0:7], s[8:9], 0x8
	s_waitcnt lgkmcnt(0)
	v_add_f32_e32 v13, v3, v4
	v_sub_f32_e32 v16, v3, v4
	v_add_f32_e32 v3, v6, v15
	v_mul_f32_e32 v18, 0.5, v3
	v_sub_f32_e32 v3, v5, v12
	v_add_f32_e32 v17, v5, v12
	v_mul_f32_e32 v12, 0.5, v3
	v_sub_f32_e32 v4, v6, v15
	v_mul_f32_e32 v6, s1, v12
	v_mul_f32_e32 v5, 0.5, v4
	v_fma_f32 v3, 0.5, v17, v6
	v_fma_f32 v6, v17, 0.5, -v6
	v_fma_f32 v4, s1, v18, v5
	v_fma_f32 v15, -s0, v18, v6
	v_fma_f32 v17, v18, s1, -v5
	ds_read2_b32 v[5:6], v2 offset0:15 offset1:16
	v_mov_b32_e32 v14, 0
	v_fma_f32 v4, -s0, v12, v4
	v_fma_f32 v12, -s0, v12, v17
	ds_write_b32 v2, v14 offset:84
	v_fmac_f32_e32 v3, s0, v18
	ds_write2_b32 v2, v12, v16 offset0:19 offset1:20
	ds_write2_b64 v2, v[13:14], v[3:4] offset1:1
	s_waitcnt lgkmcnt(3)
	v_add_f32_e32 v12, v7, v6
	v_sub_f32_e32 v6, v7, v6
	ds_read2_b32 v[3:4], v2 offset0:13 offset1:14
	v_add_f32_e32 v13, v8, v11
	v_sub_f32_e32 v7, v8, v11
	v_mul_f32_e32 v8, 0.5, v6
	v_mul_f32_e32 v11, s3, v8
	v_mul_f32_e32 v16, 0.5, v13
	v_mul_f32_e32 v17, 0.5, v7
	v_fma_f32 v6, 0.5, v12, v11
	v_fma_f32 v18, v12, 0.5, -v11
	v_fma_f32 v7, s3, v16, v17
	v_fmac_f32_e32 v6, s2, v16
	v_fma_f32 v18, -s2, v16, v18
	v_fma_f32 v16, v16, s3, -v17
	v_fma_f32 v7, -s2, v8, v7
	v_fma_f32 v8, -s2, v8, v16
	ds_read2_b32 v[11:12], v2 offset0:11 offset1:12
	ds_read_b64 v[13:14], v2 offset:32
	ds_write2_b32 v2, v8, v15 offset0:17 offset1:18
	s_waitcnt lgkmcnt(3)
	v_add_f32_e32 v8, v9, v4
	v_sub_f32_e32 v4, v9, v4
	v_add_f32_e32 v15, v10, v5
	v_sub_f32_e32 v5, v10, v5
	v_mul_f32_e32 v9, 0.5, v4
	v_mul_f32_e32 v15, 0.5, v15
	;; [unrolled: 1-line block ×3, first 2 shown]
	v_mul_f32_e32 v16, s5, v9
	v_fma_f32 v4, 0.5, v8, v16
	v_fma_f32 v5, s5, v15, v10
	v_fma_f32 v10, v15, s5, -v10
	v_fmac_f32_e32 v4, s4, v15
	v_fma_f32 v5, -s4, v9, v5
	v_fma_f32 v9, -s4, v9, v10
	ds_write2_b32 v2, v9, v18 offset0:15 offset1:16
	ds_write2_b64 v2, v[6:7], v[4:5] offset0:2 offset1:3
	s_waitcnt lgkmcnt(3)
	v_add_f32_e32 v4, v14, v3
	v_mul_f32_e32 v6, 0.5, v4
	v_sub_f32_e32 v4, v13, v12
	v_mul_f32_e32 v7, 0.5, v4
	v_add_f32_e32 v5, v13, v12
	v_sub_f32_e32 v3, v14, v3
	v_mul_f32_e32 v10, s7, v7
	v_mul_f32_e32 v9, 0.5, v3
	v_fma_f32 v3, 0.5, v5, v10
	v_fma_f32 v5, v5, 0.5, -v10
	v_fma_f32 v8, v8, 0.5, -v16
	v_fmac_f32_e32 v3, s6, v6
	v_fma_f32 v4, s7, v6, v9
	v_fma_f32 v5, -s6, v6, v5
	v_fma_f32 v6, v6, s7, -v9
	v_fma_f32 v8, -s4, v15, v8
	v_fma_f32 v6, -s6, v7, v6
	v_xor_b32_e32 v11, 0x80000000, v11
	v_fma_f32 v4, -s6, v7, v4
	ds_write2_b32 v2, v6, v8 offset0:13 offset1:14
	ds_write_b64 v2, v[3:4] offset:32
	ds_write2_b32 v2, v11, v5 offset0:11 offset1:12
	s_waitcnt lgkmcnt(0)
	; wave barrier
	s_waitcnt lgkmcnt(0)
	s_and_saveexec_b64 s[0:1], vcc
	s_cbranch_execz .LBB0_13
; %bb.12:
	ds_read2_b64 v[3:6], v2 offset1:1
	v_mov_b32_e32 v7, s13
	v_add_co_u32_e32 v0, vcc, s12, v0
	v_addc_co_u32_e32 v1, vcc, v7, v1, vcc
	ds_read2_b64 v[7:10], v2 offset0:2 offset1:3
	s_waitcnt lgkmcnt(1)
	global_store_dwordx4 v[0:1], v[3:6], off
	ds_read2_b64 v[3:6], v2 offset0:4 offset1:5
	ds_read2_b64 v[11:14], v2 offset0:6 offset1:7
	;; [unrolled: 1-line block ×3, first 2 shown]
	ds_read_b64 v[19:20], v2 offset:80
	s_waitcnt lgkmcnt(4)
	global_store_dwordx4 v[0:1], v[7:10], off offset:16
	s_waitcnt lgkmcnt(3)
	global_store_dwordx4 v[0:1], v[3:6], off offset:32
	;; [unrolled: 2-line block ×4, first 2 shown]
	s_waitcnt lgkmcnt(0)
	global_store_dwordx2 v[0:1], v[19:20], off offset:80
.LBB0_13:
	s_endpgm
	.section	.rodata,"a",@progbits
	.p2align	6, 0x0
	.amdhsa_kernel fft_rtc_fwd_len10_factors_10_wgs_64_tpt_1_sp_ip_CI_unitstride_sbrr_R2C_dirReg
		.amdhsa_group_segment_fixed_size 0
		.amdhsa_private_segment_fixed_size 0
		.amdhsa_kernarg_size 88
		.amdhsa_user_sgpr_count 6
		.amdhsa_user_sgpr_private_segment_buffer 1
		.amdhsa_user_sgpr_dispatch_ptr 0
		.amdhsa_user_sgpr_queue_ptr 0
		.amdhsa_user_sgpr_kernarg_segment_ptr 1
		.amdhsa_user_sgpr_dispatch_id 0
		.amdhsa_user_sgpr_flat_scratch_init 0
		.amdhsa_user_sgpr_private_segment_size 0
		.amdhsa_uses_dynamic_stack 0
		.amdhsa_system_sgpr_private_segment_wavefront_offset 0
		.amdhsa_system_sgpr_workgroup_id_x 1
		.amdhsa_system_sgpr_workgroup_id_y 0
		.amdhsa_system_sgpr_workgroup_id_z 0
		.amdhsa_system_sgpr_workgroup_info 0
		.amdhsa_system_vgpr_workitem_id 0
		.amdhsa_next_free_vgpr 47
		.amdhsa_next_free_sgpr 22
		.amdhsa_reserve_vcc 1
		.amdhsa_reserve_flat_scratch 0
		.amdhsa_float_round_mode_32 0
		.amdhsa_float_round_mode_16_64 0
		.amdhsa_float_denorm_mode_32 3
		.amdhsa_float_denorm_mode_16_64 3
		.amdhsa_dx10_clamp 1
		.amdhsa_ieee_mode 1
		.amdhsa_fp16_overflow 0
		.amdhsa_exception_fp_ieee_invalid_op 0
		.amdhsa_exception_fp_denorm_src 0
		.amdhsa_exception_fp_ieee_div_zero 0
		.amdhsa_exception_fp_ieee_overflow 0
		.amdhsa_exception_fp_ieee_underflow 0
		.amdhsa_exception_fp_ieee_inexact 0
		.amdhsa_exception_int_div_zero 0
	.end_amdhsa_kernel
	.text
.Lfunc_end0:
	.size	fft_rtc_fwd_len10_factors_10_wgs_64_tpt_1_sp_ip_CI_unitstride_sbrr_R2C_dirReg, .Lfunc_end0-fft_rtc_fwd_len10_factors_10_wgs_64_tpt_1_sp_ip_CI_unitstride_sbrr_R2C_dirReg
                                        ; -- End function
	.section	.AMDGPU.csdata,"",@progbits
; Kernel info:
; codeLenInByte = 2980
; NumSgprs: 26
; NumVgprs: 47
; ScratchSize: 0
; MemoryBound: 0
; FloatMode: 240
; IeeeMode: 1
; LDSByteSize: 0 bytes/workgroup (compile time only)
; SGPRBlocks: 3
; VGPRBlocks: 11
; NumSGPRsForWavesPerEU: 26
; NumVGPRsForWavesPerEU: 47
; Occupancy: 5
; WaveLimiterHint : 1
; COMPUTE_PGM_RSRC2:SCRATCH_EN: 0
; COMPUTE_PGM_RSRC2:USER_SGPR: 6
; COMPUTE_PGM_RSRC2:TRAP_HANDLER: 0
; COMPUTE_PGM_RSRC2:TGID_X_EN: 1
; COMPUTE_PGM_RSRC2:TGID_Y_EN: 0
; COMPUTE_PGM_RSRC2:TGID_Z_EN: 0
; COMPUTE_PGM_RSRC2:TIDIG_COMP_CNT: 0
	.type	__hip_cuid_3f838d3b1f01a428,@object ; @__hip_cuid_3f838d3b1f01a428
	.section	.bss,"aw",@nobits
	.globl	__hip_cuid_3f838d3b1f01a428
__hip_cuid_3f838d3b1f01a428:
	.byte	0                               ; 0x0
	.size	__hip_cuid_3f838d3b1f01a428, 1

	.ident	"AMD clang version 19.0.0git (https://github.com/RadeonOpenCompute/llvm-project roc-6.4.0 25133 c7fe45cf4b819c5991fe208aaa96edf142730f1d)"
	.section	".note.GNU-stack","",@progbits
	.addrsig
	.addrsig_sym __hip_cuid_3f838d3b1f01a428
	.amdgpu_metadata
---
amdhsa.kernels:
  - .args:
      - .actual_access:  read_only
        .address_space:  global
        .offset:         0
        .size:           8
        .value_kind:     global_buffer
      - .offset:         8
        .size:           8
        .value_kind:     by_value
      - .actual_access:  read_only
        .address_space:  global
        .offset:         16
        .size:           8
        .value_kind:     global_buffer
      - .actual_access:  read_only
        .address_space:  global
        .offset:         24
        .size:           8
        .value_kind:     global_buffer
      - .offset:         32
        .size:           8
        .value_kind:     by_value
      - .actual_access:  read_only
        .address_space:  global
        .offset:         40
        .size:           8
        .value_kind:     global_buffer
      - .actual_access:  read_only
        .address_space:  global
        .offset:         48
        .size:           8
        .value_kind:     global_buffer
      - .offset:         56
        .size:           4
        .value_kind:     by_value
      - .actual_access:  read_only
        .address_space:  global
        .offset:         64
        .size:           8
        .value_kind:     global_buffer
      - .actual_access:  read_only
        .address_space:  global
        .offset:         72
        .size:           8
        .value_kind:     global_buffer
      - .address_space:  global
        .offset:         80
        .size:           8
        .value_kind:     global_buffer
    .group_segment_fixed_size: 0
    .kernarg_segment_align: 8
    .kernarg_segment_size: 88
    .language:       OpenCL C
    .language_version:
      - 2
      - 0
    .max_flat_workgroup_size: 64
    .name:           fft_rtc_fwd_len10_factors_10_wgs_64_tpt_1_sp_ip_CI_unitstride_sbrr_R2C_dirReg
    .private_segment_fixed_size: 0
    .sgpr_count:     26
    .sgpr_spill_count: 0
    .symbol:         fft_rtc_fwd_len10_factors_10_wgs_64_tpt_1_sp_ip_CI_unitstride_sbrr_R2C_dirReg.kd
    .uniform_work_group_size: 1
    .uses_dynamic_stack: false
    .vgpr_count:     47
    .vgpr_spill_count: 0
    .wavefront_size: 64
amdhsa.target:   amdgcn-amd-amdhsa--gfx906
amdhsa.version:
  - 1
  - 2
...

	.end_amdgpu_metadata
